;; amdgpu-corpus repo=ROCm/rocFFT kind=compiled arch=gfx950 opt=O3
	.text
	.amdgcn_target "amdgcn-amd-amdhsa--gfx950"
	.amdhsa_code_object_version 6
	.protected	fft_rtc_fwd_len84_factors_6_2_7_wgs_252_tpt_7_halfLds_dim2_sp_ip_CI_sbcc_twdbase8_2step_dirReg ; -- Begin function fft_rtc_fwd_len84_factors_6_2_7_wgs_252_tpt_7_halfLds_dim2_sp_ip_CI_sbcc_twdbase8_2step_dirReg
	.globl	fft_rtc_fwd_len84_factors_6_2_7_wgs_252_tpt_7_halfLds_dim2_sp_ip_CI_sbcc_twdbase8_2step_dirReg
	.p2align	8
	.type	fft_rtc_fwd_len84_factors_6_2_7_wgs_252_tpt_7_halfLds_dim2_sp_ip_CI_sbcc_twdbase8_2step_dirReg,@function
fft_rtc_fwd_len84_factors_6_2_7_wgs_252_tpt_7_halfLds_dim2_sp_ip_CI_sbcc_twdbase8_2step_dirReg: ; @fft_rtc_fwd_len84_factors_6_2_7_wgs_252_tpt_7_halfLds_dim2_sp_ip_CI_sbcc_twdbase8_2step_dirReg
; %bb.0:
	s_load_dwordx4 s[4:7], s[0:1], 0x10
	s_mov_b32 s3, 0
	s_waitcnt lgkmcnt(0)
	s_load_dwordx2 s[16:17], s[4:5], 0x8
	s_load_dwordx2 s[14:15], s[0:1], 0x50
	;; [unrolled: 1-line block ×3, first 2 shown]
	s_mov_b64 s[4:5], -1
	s_waitcnt lgkmcnt(0)
	s_add_u32 s8, s16, -1
	s_addc_u32 s9, s17, -1
	s_add_u32 s10, 0, 0x1c713f00
	s_addc_u32 s11, 0, 31
	s_add_i32 s11, s11, 0x71c71a8
	s_mul_hi_u32 s21, s10, 0xffffffdc
	s_sub_i32 s21, s21, s10
	s_mul_i32 s22, s11, 0xffffffdc
	s_mul_i32 s18, s10, 0xffffffdc
	s_add_i32 s21, s21, s22
	s_mul_hi_u32 s19, s11, s18
	s_mul_i32 s20, s11, s18
	s_mul_i32 s23, s10, s21
	s_mul_hi_u32 s18, s10, s18
	s_mul_hi_u32 s22, s10, s21
	s_add_u32 s18, s18, s23
	s_addc_u32 s22, 0, s22
	s_add_u32 s18, s18, s20
	s_mul_hi_u32 s23, s11, s21
	s_addc_u32 s18, s22, s19
	s_addc_u32 s19, s23, 0
	s_mul_i32 s20, s11, s21
	s_add_u32 s18, s18, s20
	v_mov_b32_e32 v1, s18
	s_addc_u32 s19, 0, s19
	v_add_co_u32_e32 v1, vcc, s10, v1
	s_cmp_lg_u64 vcc, 0
	s_addc_u32 s10, s11, s19
	v_readfirstlane_b32 s19, v1
	s_mul_i32 s18, s8, s10
	s_mul_hi_u32 s20, s8, s19
	s_mul_hi_u32 s11, s8, s10
	s_add_u32 s18, s20, s18
	s_addc_u32 s11, 0, s11
	s_mul_hi_u32 s21, s9, s19
	s_mul_i32 s19, s9, s19
	s_add_u32 s18, s18, s19
	s_mul_hi_u32 s20, s9, s10
	s_addc_u32 s11, s11, s21
	s_addc_u32 s18, s20, 0
	s_mul_i32 s10, s9, s10
	s_add_u32 s10, s11, s10
	s_addc_u32 s11, 0, s18
	s_add_u32 s18, s10, 1
	s_addc_u32 s19, s11, 0
	s_add_u32 s20, s10, 2
	s_mul_i32 s22, s11, 36
	s_mul_hi_u32 s23, s10, 36
	s_addc_u32 s21, s11, 0
	s_add_i32 s23, s23, s22
	s_mul_i32 s22, s10, 36
	v_mov_b32_e32 v1, s22
	v_sub_co_u32_e32 v1, vcc, s8, v1
	s_cmp_lg_u64 vcc, 0
	s_subb_u32 s8, s9, s23
	v_subrev_co_u32_e32 v2, vcc, 36, v1
	s_cmp_lg_u64 vcc, 0
	s_subb_u32 s9, s8, 0
	v_readfirstlane_b32 s22, v2
	s_cmp_gt_u32 s22, 35
	s_cselect_b32 s22, -1, 0
	s_cmp_eq_u32 s9, 0
	s_cselect_b32 s9, s22, -1
	s_cmp_lg_u32 s9, 0
	s_cselect_b32 s9, s20, s18
	s_cselect_b32 s18, s21, s19
	v_readfirstlane_b32 s19, v1
	s_cmp_gt_u32 s19, 35
	s_cselect_b32 s19, -1, 0
	s_cmp_eq_u32 s8, 0
	s_cselect_b32 s8, s19, -1
	s_cmp_lg_u32 s8, 0
	s_cselect_b32 s8, s9, s10
	s_cselect_b32 s11, s18, s11
	s_add_u32 s8, s8, 1
	s_addc_u32 s9, s11, 0
	v_mov_b64_e32 v[2:3], s[8:9]
	v_cmp_lt_u64_e32 vcc, s[2:3], v[2:3]
	s_mov_b64 s[20:21], 0
	s_cbranch_vccnz .LBB0_2
; %bb.1:
	v_cvt_f32_u32_e32 v1, s8
	s_sub_i32 s3, 0, s8
	v_rcp_iflag_f32_e32 v1, v1
	s_nop 0
	v_mul_f32_e32 v1, 0x4f7ffffe, v1
	v_cvt_u32_f32_e32 v1, v1
	s_nop 0
	v_readfirstlane_b32 s10, v1
	s_mul_i32 s3, s3, s10
	s_mul_hi_u32 s3, s10, s3
	s_add_i32 s10, s10, s3
	s_mul_hi_u32 s3, s2, s10
	s_mul_i32 s11, s3, s8
	s_sub_i32 s11, s2, s11
	s_add_i32 s10, s3, 1
	s_sub_i32 s18, s11, s8
	s_cmp_ge_u32 s11, s8
	s_cselect_b32 s3, s10, s3
	s_cselect_b32 s11, s18, s11
	s_add_i32 s10, s3, 1
	s_cmp_ge_u32 s11, s8
	s_cselect_b32 s20, s10, s3
.LBB0_2:
	s_mul_i32 s3, s20, s9
	s_mul_hi_u32 s9, s20, s8
	s_add_i32 s9, s9, s3
	s_mul_i32 s3, s20, s8
	s_sub_u32 s2, s2, s3
	s_subb_u32 s3, 0, s9
	s_load_dwordx4 s[8:11], s[6:7], 0x8
	s_mul_i32 s21, s3, 36
	s_mul_hi_u32 s3, s2, 36
	s_mul_i32 s23, s2, 36
	s_add_i32 s22, s3, s21
	s_waitcnt lgkmcnt(0)
	s_mul_i32 s6, s23, s9
	s_mul_hi_u32 s7, s23, s8
	s_mul_i32 s3, s22, s8
	s_add_i32 s6, s7, s6
	s_mul_i32 s7, s11, s20
	s_mul_hi_u32 s11, s10, s20
	s_add_i32 s3, s6, s3
	s_mul_i32 s6, s23, s8
	s_add_i32 s11, s11, s7
	s_mul_i32 s7, s10, s20
	s_add_u32 s6, s7, s6
	v_mul_u32_u24_e32 v1, 0x71d, v0
	s_load_dwordx2 s[18:19], s[0:1], 0x0
	s_addc_u32 s7, s11, s3
	v_lshrrev_b32_e32 v80, 16, v1
	v_mul_lo_u16_e32 v1, 36, v80
	s_add_u32 s10, s23, 36
	v_sub_u16_e32 v12, v0, v1
	v_mov_b32_e32 v13, 0
	s_addc_u32 s11, s22, 0
	v_mov_b64_e32 v[2:3], s[16:17]
	v_mad_u64_u32 v[14:15], s[2:3], s2, 36, v[12:13]
	v_cmp_gt_u64_e32 vcc, s[10:11], v[2:3]
	v_add_u32_e32 v15, s21, v15
	v_cmp_le_u64_e64 s[2:3], s[10:11], v[2:3]
	s_and_b64 vcc, exec, vcc
	v_add_u32_e32 v31, 14, v80
	v_add_u32_e32 v32, 28, v80
	;; [unrolled: 1-line block ×5, first 2 shown]
	s_cbranch_vccnz .LBB0_4
; %bb.3:
	v_mad_u64_u32 v[2:3], s[4:5], s8, v12, 0
	v_mov_b32_e32 v4, v3
	v_mad_u64_u32 v[4:5], s[4:5], s9, v12, v[4:5]
	v_mov_b32_e32 v3, v4
	;; [unrolled: 2-line block ×3, first 2 shown]
	v_mad_u64_u32 v[6:7], s[4:5], s13, v80, v[6:7]
	s_lshl_b64 s[4:5], s[6:7], 3
	s_add_u32 s4, s14, s4
	s_addc_u32 s5, s15, s5
	v_add_u32_e32 v13, 14, v80
	v_mov_b32_e32 v5, v6
	v_lshl_add_u64 v[22:23], v[2:3], 3, s[4:5]
	v_mad_u64_u32 v[2:3], s[4:5], s12, v13, 0
	v_lshl_add_u64 v[8:9], v[4:5], 3, v[22:23]
	v_mov_b32_e32 v4, v3
	v_mad_u64_u32 v[4:5], s[4:5], s13, v13, v[4:5]
	v_mov_b32_e32 v3, v4
	v_add_u32_e32 v1, 28, v80
	v_lshl_add_u64 v[10:11], v[2:3], 3, v[22:23]
	v_mad_u64_u32 v[2:3], s[4:5], s12, v1, 0
	v_mov_b32_e32 v4, v3
	v_mad_u64_u32 v[4:5], s[4:5], s13, v1, v[4:5]
	v_mov_b32_e32 v3, v4
	v_add_u32_e32 v5, 42, v80
	v_lshl_add_u64 v[18:19], v[2:3], 3, v[22:23]
	v_mad_u64_u32 v[2:3], s[4:5], s12, v5, 0
	v_mov_b32_e32 v4, v3
	v_mad_u64_u32 v[4:5], s[4:5], s13, v5, v[4:5]
	v_mov_b32_e32 v3, v4
	v_lshl_add_u64 v[20:21], v[2:3], 3, v[22:23]
	global_load_dwordx2 v[2:3], v[8:9], off
	global_load_dwordx2 v[6:7], v[10:11], off
	;; [unrolled: 1-line block ×4, first 2 shown]
	v_or_b32_e32 v11, 56, v80
	v_mad_u64_u32 v[8:9], s[4:5], s12, v11, 0
	v_mov_b32_e32 v10, v9
	v_mad_u64_u32 v[10:11], s[4:5], s13, v11, v[10:11]
	v_mov_b32_e32 v9, v10
	v_add_u32_e32 v11, 0x46, v80
	v_lshl_add_u64 v[24:25], v[8:9], 3, v[22:23]
	v_mad_u64_u32 v[8:9], s[4:5], s12, v11, 0
	v_mov_b32_e32 v10, v9
	v_mad_u64_u32 v[10:11], s[4:5], s13, v11, v[10:11]
	v_mov_b32_e32 v9, v10
	v_add_u32_e32 v81, 7, v80
	v_lshl_add_u64 v[26:27], v[8:9], 3, v[22:23]
	;; [unrolled: 6-line block ×4, first 2 shown]
	global_load_dwordx2 v[20:21], v[24:25], off
	global_load_dwordx2 v[18:19], v[26:27], off
	;; [unrolled: 1-line block ×4, first 2 shown]
	v_mad_u64_u32 v[24:25], s[4:5], s12, v40, 0
	v_mov_b32_e32 v26, v25
	v_mad_u64_u32 v[26:27], s[4:5], s13, v40, v[26:27]
	v_mov_b32_e32 v25, v26
	v_add_u32_e32 v27, 49, v80
	v_lshl_add_u64 v[36:37], v[24:25], 3, v[22:23]
	v_mad_u64_u32 v[24:25], s[4:5], s12, v27, 0
	v_mov_b32_e32 v26, v25
	v_mad_u64_u32 v[26:27], s[4:5], s13, v27, v[26:27]
	v_mov_b32_e32 v25, v26
	v_add_u32_e32 v27, 63, v80
	v_lshl_add_u64 v[38:39], v[24:25], 3, v[22:23]
	;; [unrolled: 6-line block ×3, first 2 shown]
	v_mad_u64_u32 v[24:25], s[4:5], s12, v27, 0
	v_mov_b32_e32 v26, v25
	v_mad_u64_u32 v[26:27], s[4:5], s13, v27, v[26:27]
	v_mov_b32_e32 v25, v26
	v_lshl_add_u64 v[44:45], v[24:25], 3, v[22:23]
	global_load_dwordx2 v[28:29], v[36:37], off
	global_load_dwordx2 v[24:25], v[38:39], off
	;; [unrolled: 1-line block ×4, first 2 shown]
	s_cbranch_execz .LBB0_5
	s_branch .LBB0_10
.LBB0_4:
                                        ; implicit-def: $vgpr5
                                        ; implicit-def: $vgpr19
                                        ; implicit-def: $vgpr23
                                        ; implicit-def: $vgpr27
                                        ; implicit-def: $vgpr25
                                        ; implicit-def: $vgpr29
                                        ; implicit-def: $vgpr11
                                        ; implicit-def: $vgpr9
                                        ; implicit-def: $vgpr21
                                        ; implicit-def: $vgpr17
                                        ; implicit-def: $vgpr7
                                        ; implicit-def: $vgpr3
                                        ; implicit-def: $vgpr81
                                        ; implicit-def: $vgpr13
                                        ; implicit-def: $vgpr30
                                        ; implicit-def: $vgpr1
                                        ; implicit-def: $vgpr40
	s_andn2_b64 vcc, exec, s[4:5]
	s_cbranch_vccnz .LBB0_10
.LBB0_5:
	v_cmp_le_u64_e32 vcc, s[16:17], v[14:15]
                                        ; implicit-def: $vgpr81
                                        ; implicit-def: $vgpr13
                                        ; implicit-def: $vgpr30
                                        ; implicit-def: $vgpr1
                                        ; implicit-def: $vgpr40
	s_and_saveexec_b64 s[4:5], vcc
	s_xor_b64 s[4:5], exec, s[4:5]
; %bb.6:
	v_add_u32_e32 v81, 7, v80
	v_add_u32_e32 v13, 14, v80
	;; [unrolled: 1-line block ×5, first 2 shown]
                                        ; implicit-def: $vgpr31
                                        ; implicit-def: $vgpr32
                                        ; implicit-def: $vgpr33
                                        ; implicit-def: $vgpr34
                                        ; implicit-def: $vgpr35
; %bb.7:
	s_or_saveexec_b64 s[4:5], s[4:5]
                                        ; implicit-def: $vgpr5
                                        ; implicit-def: $vgpr19
                                        ; implicit-def: $vgpr23
                                        ; implicit-def: $vgpr27
                                        ; implicit-def: $vgpr25
                                        ; implicit-def: $vgpr29
                                        ; implicit-def: $vgpr11
                                        ; implicit-def: $vgpr9
                                        ; implicit-def: $vgpr21
                                        ; implicit-def: $vgpr17
                                        ; implicit-def: $vgpr7
                                        ; implicit-def: $vgpr3
	s_xor_b64 exec, exec, s[4:5]
	s_cbranch_execz .LBB0_9
; %bb.8:
	s_waitcnt vmcnt(11)
	v_mad_u64_u32 v[2:3], s[10:11], s8, v12, 0
	s_waitcnt vmcnt(8)
	v_mov_b32_e32 v4, v3
	v_mad_u64_u32 v[4:5], s[10:11], s9, v12, v[4:5]
	v_mov_b32_e32 v3, v4
	v_mad_u64_u32 v[4:5], s[10:11], s12, v80, 0
	;; [unrolled: 2-line block ×3, first 2 shown]
	s_lshl_b64 s[10:11], s[6:7], 3
	s_add_u32 s10, s14, s10
	s_addc_u32 s11, s15, s11
	v_mov_b32_e32 v5, v6
	s_waitcnt vmcnt(0)
	v_lshl_add_u64 v[22:23], v[2:3], 3, s[10:11]
	v_mad_u64_u32 v[2:3], s[10:11], s12, v31, 0
	v_lshl_add_u64 v[8:9], v[4:5], 3, v[22:23]
	v_mov_b32_e32 v4, v3
	v_mad_u64_u32 v[4:5], s[10:11], s13, v31, v[4:5]
	v_mov_b32_e32 v3, v4
	v_lshl_add_u64 v[10:11], v[2:3], 3, v[22:23]
	v_mad_u64_u32 v[2:3], s[10:11], s12, v32, 0
	v_mov_b32_e32 v4, v3
	v_mad_u64_u32 v[4:5], s[10:11], s13, v32, v[4:5]
	v_mov_b32_e32 v3, v4
	v_add_u32_e32 v1, 42, v80
	v_lshl_add_u64 v[18:19], v[2:3], 3, v[22:23]
	v_mad_u64_u32 v[2:3], s[10:11], s12, v1, 0
	v_mov_b32_e32 v4, v3
	v_mad_u64_u32 v[4:5], s[10:11], s13, v1, v[4:5]
	v_mov_b32_e32 v3, v4
	v_or_b32_e32 v1, 56, v80
	v_lshl_add_u64 v[20:21], v[2:3], 3, v[22:23]
	global_load_dwordx2 v[2:3], v[8:9], off
	global_load_dwordx2 v[6:7], v[10:11], off
	;; [unrolled: 1-line block ×4, first 2 shown]
	v_mad_u64_u32 v[8:9], s[10:11], s12, v1, 0
	v_mov_b32_e32 v10, v9
	v_mad_u64_u32 v[10:11], s[10:11], s13, v1, v[10:11]
	v_mov_b32_e32 v9, v10
	v_add_u32_e32 v1, 0x46, v80
	v_lshl_add_u64 v[24:25], v[8:9], 3, v[22:23]
	v_mad_u64_u32 v[8:9], s[10:11], s12, v1, 0
	v_mov_b32_e32 v10, v9
	v_mad_u64_u32 v[10:11], s[10:11], s13, v1, v[10:11]
	v_mov_b32_e32 v9, v10
	v_lshl_add_u64 v[26:27], v[8:9], 3, v[22:23]
	v_mad_u64_u32 v[8:9], s[10:11], s12, v33, 0
	v_mov_b32_e32 v10, v9
	v_mad_u64_u32 v[10:11], s[10:11], s13, v33, v[10:11]
	v_mov_b32_e32 v9, v10
	;; [unrolled: 5-line block ×3, first 2 shown]
	v_lshl_add_u64 v[36:37], v[8:9], 3, v[22:23]
	global_load_dwordx2 v[20:21], v[24:25], off
	global_load_dwordx2 v[18:19], v[26:27], off
	;; [unrolled: 1-line block ×4, first 2 shown]
	v_mad_u64_u32 v[24:25], s[10:11], s12, v35, 0
	v_mov_b32_e32 v26, v25
	v_mad_u64_u32 v[26:27], s[10:11], s13, v35, v[26:27]
	v_mov_b32_e32 v25, v26
	v_add_u32_e32 v1, 49, v80
	v_lshl_add_u64 v[36:37], v[24:25], 3, v[22:23]
	v_mad_u64_u32 v[24:25], s[10:11], s12, v1, 0
	v_mov_b32_e32 v26, v25
	v_mad_u64_u32 v[26:27], s[10:11], s13, v1, v[26:27]
	v_mov_b32_e32 v25, v26
	v_add_u32_e32 v1, 63, v80
	v_lshl_add_u64 v[38:39], v[24:25], 3, v[22:23]
	;; [unrolled: 6-line block ×3, first 2 shown]
	v_mad_u64_u32 v[24:25], s[10:11], s12, v1, 0
	v_mov_b32_e32 v26, v25
	v_mad_u64_u32 v[26:27], s[10:11], s13, v1, v[26:27]
	v_mov_b32_e32 v25, v26
	v_lshl_add_u64 v[42:43], v[24:25], 3, v[22:23]
	global_load_dwordx2 v[28:29], v[36:37], off
	global_load_dwordx2 v[24:25], v[38:39], off
	;; [unrolled: 1-line block ×4, first 2 shown]
	v_mov_b32_e32 v81, v33
	v_mov_b32_e32 v13, v31
	;; [unrolled: 1-line block ×5, first 2 shown]
.LBB0_9:
	s_or_b64 exec, exec, s[4:5]
.LBB0_10:
	s_waitcnt vmcnt(9)
	v_pk_add_f32 v[32:33], v[2:3], v[16:17]
	s_waitcnt vmcnt(7)
	v_pk_add_f32 v[34:35], v[16:17], v[20:21]
	v_pk_add_f32 v[32:33], v[32:33], v[20:21]
	v_fmac_f32_e32 v2, -0.5, v34
	v_pk_add_f32 v[16:17], v[16:17], v[20:21] neg_lo:[0,1] neg_hi:[0,1]
	v_fmac_f32_e32 v3, -0.5, v35
	s_waitcnt vmcnt(6)
	v_pk_add_f32 v[20:21], v[18:19], v[4:5]
	v_fmamk_f32 v31, v17, 0x3f5db3d7, v2
	v_fmac_f32_e32 v2, 0xbf5db3d7, v17
	v_fmamk_f32 v34, v16, 0xbf5db3d7, v3
	v_fmac_f32_e32 v3, 0x3f5db3d7, v16
	v_pk_add_f32 v[16:17], v[6:7], v[4:5]
	v_fmac_f32_e32 v6, -0.5, v20
	v_pk_add_f32 v[4:5], v[4:5], v[18:19] neg_lo:[0,1] neg_hi:[0,1]
	v_pk_add_f32 v[16:17], v[18:19], v[16:17]
	v_fmamk_f32 v18, v5, 0x3f5db3d7, v6
	v_fmac_f32_e32 v6, 0xbf5db3d7, v5
	v_fmac_f32_e32 v7, -0.5, v21
	v_fmamk_f32 v19, v4, 0xbf5db3d7, v7
	v_fmac_f32_e32 v7, 0x3f5db3d7, v4
	v_mul_f32_e32 v21, -0.5, v6
	v_mul_f32_e32 v20, 0.5, v18
	v_fmac_f32_e32 v21, 0x3f5db3d7, v7
	v_mul_f32_e32 v18, 0xbf5db3d7, v18
	v_mul_f32_e32 v7, -0.5, v7
	v_fmac_f32_e32 v18, 0.5, v19
	v_fmac_f32_e32 v7, 0xbf5db3d7, v6
	v_pk_add_f32 v[4:5], v[32:33], v[16:17]
	v_add_f32_e32 v37, v34, v18
	v_add_f32_e32 v38, v3, v7
	v_pk_add_f32 v[16:17], v[32:33], v[16:17] neg_lo:[0,1] neg_hi:[0,1]
	v_sub_f32_e32 v33, v34, v18
	v_sub_f32_e32 v34, v3, v7
	s_waitcnt vmcnt(1)
	v_pk_add_f32 v[6:7], v[28:29], v[26:27]
	v_fmac_f32_e32 v20, 0x3f5db3d7, v19
	v_add_f32_e32 v36, v2, v21
	v_sub_f32_e32 v32, v2, v21
	v_pk_add_f32 v[2:3], v[8:9], v[28:29]
	v_fmac_f32_e32 v8, -0.5, v6
	v_pk_add_f32 v[18:19], v[28:29], v[26:27] neg_lo:[0,1] neg_hi:[0,1]
	v_fmac_f32_e32 v9, -0.5, v7
	v_pk_add_f32 v[2:3], v[2:3], v[26:27]
	v_fmamk_f32 v26, v19, 0x3f5db3d7, v8
	v_fmac_f32_e32 v8, 0xbf5db3d7, v19
	v_fmamk_f32 v27, v18, 0xbf5db3d7, v9
	v_fmac_f32_e32 v9, 0x3f5db3d7, v18
	s_waitcnt vmcnt(0)
	v_pk_add_f32 v[18:19], v[24:25], v[22:23]
	v_add_f32_e32 v35, v31, v20
	v_sub_f32_e32 v31, v31, v20
	v_pk_add_f32 v[6:7], v[10:11], v[24:25]
	v_fmac_f32_e32 v10, -0.5, v18
	v_pk_add_f32 v[20:21], v[24:25], v[22:23] neg_lo:[0,1] neg_hi:[0,1]
	v_pk_add_f32 v[6:7], v[6:7], v[22:23]
	v_fmamk_f32 v22, v21, 0x3f5db3d7, v10
	v_fmac_f32_e32 v10, 0xbf5db3d7, v21
	v_fmac_f32_e32 v11, -0.5, v19
	v_fmamk_f32 v21, v20, 0xbf5db3d7, v11
	v_fmac_f32_e32 v11, 0x3f5db3d7, v20
	v_mul_f32_e32 v24, -0.5, v10
	v_fmac_f32_e32 v24, 0x3f5db3d7, v11
	v_mul_f32_e32 v11, -0.5, v11
	v_mul_f32_e32 v20, 0.5, v22
	v_fmac_f32_e32 v11, 0xbf5db3d7, v10
	v_fmac_f32_e32 v20, 0x3f5db3d7, v21
	v_add_f32_e32 v10, v9, v11
	v_sub_f32_e32 v9, v9, v11
	v_mul_u32_u24_e32 v11, 0x360, v80
	v_lshlrev_b32_e32 v55, 2, v12
	v_pk_add_f32 v[18:19], v[2:3], v[6:7]
	v_add_f32_e32 v23, v26, v20
	v_pk_add_f32 v[2:3], v[2:3], v[6:7] neg_lo:[0,1] neg_hi:[0,1]
	v_sub_f32_e32 v6, v26, v20
	v_add3_u32 v20, 0, v11, v55
	ds_write2_b32 v20, v4, v35 offset1:36
	ds_write2_b32 v20, v36, v16 offset0:72 offset1:108
	ds_write2_b32 v20, v31, v32 offset0:144 offset1:180
	v_mul_i32_i24_e32 v4, 0x360, v81
	v_mul_f32_e32 v22, 0xbf5db3d7, v22
	v_sub_f32_e32 v7, v8, v24
	v_add3_u32 v4, 0, v4, v55
	s_movk_i32 s4, 0xfd30
	v_add_f32_e32 v25, v8, v24
	v_fmac_f32_e32 v22, 0.5, v21
	ds_write2_b32 v4, v18, v23 offset1:36
	ds_write2_b32 v4, v25, v2 offset0:72 offset1:108
	ds_write2_b32 v4, v6, v7 offset0:144 offset1:180
	v_mad_i32_i24 v7, v80, s4, v20
	v_add_f32_e32 v21, v27, v22
	v_sub_f32_e32 v8, v27, v22
	v_add_u32_e32 v2, 0x17a0, v7
	v_mad_i32_i24 v11, v81, s4, v4
	v_mul_i32_i24_e32 v6, 0x90, v13
	v_add_u32_e32 v16, 0x1f80, v7
	v_mul_i32_i24_e32 v18, 0x90, v30
	v_mul_i32_i24_e32 v22, 0x90, v1
	v_add_u32_e32 v23, 0x2760, v7
	v_mul_i32_i24_e32 v31, 0x90, v40
	s_movk_i32 s4, 0xab
	s_waitcnt lgkmcnt(0)
	s_barrier
	ds_read2_b32 v[24:25], v2 offset1:252
	v_add3_u32 v6, 0, v6, v55
	ds_read2_b32 v[26:27], v16 offset1:252
	v_add3_u32 v18, 0, v18, v55
	v_add3_u32 v22, 0, v22, v55
	ds_read2_b32 v[28:29], v23 offset1:252
	v_add3_u32 v50, 0, v31, v55
	ds_read_b32 v51, v7
	ds_read_b32 v52, v11
	;; [unrolled: 1-line block ×6, first 2 shown]
	s_waitcnt lgkmcnt(0)
	s_barrier
	ds_write2_b32 v20, v5, v37 offset1:36
	ds_write2_b32 v20, v38, v17 offset0:72 offset1:108
	ds_write2_b32 v20, v33, v34 offset0:144 offset1:180
	ds_write2_b32 v4, v19, v21 offset1:36
	ds_write2_b32 v4, v10, v3 offset0:72 offset1:108
	ds_write2_b32 v4, v8, v9 offset0:144 offset1:180
	v_mul_lo_u16_e32 v3, 43, v80
	v_mul_lo_u16_sdwa v8, v81, s4 dst_sel:DWORD dst_unused:UNUSED_PAD src0_sel:BYTE_0 src1_sel:DWORD
	v_mul_lo_u16_sdwa v17, v13, s4 dst_sel:DWORD dst_unused:UNUSED_PAD src0_sel:BYTE_0 src1_sel:DWORD
	;; [unrolled: 1-line block ×3, first 2 shown]
	v_lshrrev_b16_e32 v3, 8, v3
	v_lshrrev_b16_e32 v8, 10, v8
	;; [unrolled: 1-line block ×4, first 2 shown]
	v_mul_lo_u16_e32 v4, 6, v3
	v_mul_lo_u16_e32 v9, 6, v8
	;; [unrolled: 1-line block ×4, first 2 shown]
	v_sub_u16_e32 v4, v80, v4
	v_mov_b32_e32 v5, 3
	v_sub_u16_e32 v9, v81, v9
	v_sub_u16_e32 v13, v13, v17
	v_sub_u16_e32 v19, v30, v19
	v_lshlrev_b32_sdwa v5, v5, v4 dst_sel:DWORD dst_unused:UNUSED_PAD src0_sel:DWORD src1_sel:BYTE_0
	v_and_b32_e32 v9, 0xff, v9
	v_and_b32_e32 v13, 0xff, v13
	v_and_b32_e32 v60, 0xff, v19
	s_waitcnt lgkmcnt(0)
	s_barrier
	v_lshlrev_b32_e32 v10, 3, v9
	v_lshlrev_b32_e32 v17, 3, v13
	;; [unrolled: 1-line block ×3, first 2 shown]
	global_load_dwordx2 v[36:37], v5, s[18:19]
	global_load_dwordx2 v[34:35], v10, s[18:19]
	;; [unrolled: 1-line block ×4, first 2 shown]
	v_mul_lo_u16_sdwa v5, v1, s4 dst_sel:DWORD dst_unused:UNUSED_PAD src0_sel:BYTE_0 src1_sel:DWORD
	v_lshrrev_b16_e32 v10, 10, v5
	v_mul_lo_u16_e32 v5, 6, v10
	v_sub_u16_e32 v1, v1, v5
	v_and_b32_e32 v61, 0xff, v1
	v_lshlrev_b32_e32 v1, 3, v61
	global_load_dwordx2 v[38:39], v1, s[18:19]
	v_mul_lo_u16_sdwa v1, v40, s4 dst_sel:DWORD dst_unused:UNUSED_PAD src0_sel:BYTE_0 src1_sel:DWORD
	v_lshrrev_b16_e32 v62, 10, v1
	v_mul_lo_u16_e32 v1, 6, v62
	v_sub_u16_e32 v1, v40, v1
	v_and_b32_e32 v63, 0xff, v1
	v_lshlrev_b32_e32 v1, 3, v63
	global_load_dwordx2 v[40:41], v1, s[18:19]
	ds_read2_b32 v[46:47], v2 offset1:252
	ds_read2_b32 v[44:45], v16 offset1:252
	;; [unrolled: 1-line block ×3, first 2 shown]
	ds_read_b32 v49, v7
	ds_read_b32 v48, v11
	;; [unrolled: 1-line block ×6, first 2 shown]
	s_movk_i32 s4, 0x90
	v_mad_legacy_u16 v3, v3, 12, v4
	v_mul_u32_u24_sdwa v3, v3, s4 dst_sel:DWORD dst_unused:UNUSED_PAD src0_sel:BYTE_0 src1_sel:DWORD
	v_add3_u32 v50, 0, v3, v55
	s_waitcnt lgkmcnt(0)
	s_barrier
	v_mad_u32_u24 v8, v8, 12, v9
	s_movk_i32 s4, 0xb4
	v_cmp_gt_u32_e64 s[4:5], s4, v0
	s_waitcnt vmcnt(5)
	v_mul_f32_e32 v2, v46, v37
	v_fma_f32 v2, v24, v36, -v2
	v_sub_f32_e32 v2, v51, v2
	v_fma_f32 v19, v51, 2.0, -v2
	ds_write2_b32 v50, v19, v2 offset1:216
	s_waitcnt vmcnt(4)
	v_mul_f32_e32 v6, v47, v35
	v_fma_f32 v6, v25, v34, -v6
	s_waitcnt vmcnt(3)
	v_mul_f32_e32 v16, v44, v33
	v_fma_f32 v16, v26, v32, -v16
	v_sub_f32_e32 v3, v52, v6
	s_waitcnt vmcnt(1)
	v_mul_f32_e32 v4, v42, v39
	v_fma_f32 v4, v28, v38, -v4
	v_fma_f32 v6, v52, 2.0, -v3
	v_sub_f32_e32 v64, v53, v16
	v_sub_f32_e32 v22, v56, v4
	v_mul_u32_u24_e32 v4, 0x90, v8
	v_mul_f32_e32 v18, v45, v31
	s_waitcnt vmcnt(0)
	v_mul_f32_e32 v2, v43, v41
	v_fma_f32 v2, v29, v40, -v2
	v_sub_f32_e32 v19, v57, v2
	v_mad_u32_u24 v2, v58, 12, v13
	v_mul_u32_u24_e32 v2, 0x90, v2
	v_add3_u32 v52, 0, v2, v55
	v_mad_u32_u24 v2, v59, 12, v60
	v_fma_f32 v53, v53, 2.0, -v64
	v_add3_u32 v51, 0, v4, v55
	v_mul_u32_u24_e32 v2, 0x90, v2
	v_fma_f32 v18, v27, v30, -v18
	ds_write2_b32 v51, v6, v3 offset1:216
	ds_write2_b32 v52, v53, v64 offset1:216
	v_add3_u32 v53, 0, v2, v55
	v_mad_u32_u24 v2, v10, 12, v61
	v_sub_f32_e32 v16, v54, v18
	v_mul_u32_u24_e32 v2, 0x90, v2
	v_fma_f32 v18, v54, 2.0, -v16
	v_add3_u32 v54, 0, v2, v55
	v_mad_u32_u24 v2, v62, 12, v63
	v_mul_u32_u24_e32 v2, 0x90, v2
	v_fma_f32 v20, v56, 2.0, -v22
	v_fma_f32 v21, v57, 2.0, -v19
	v_add3_u32 v55, 0, v2, v55
	ds_write2_b32 v53, v18, v16 offset1:216
	ds_write2_b32 v54, v20, v22 offset1:216
	;; [unrolled: 1-line block ×3, first 2 shown]
	s_waitcnt lgkmcnt(0)
	s_barrier
	ds_read_b32 v4, v7
	ds_read_b32 v10, v7 offset:1728
	ds_read_b32 v2, v7 offset:3456
	;; [unrolled: 1-line block ×6, first 2 shown]
                                        ; implicit-def: $vgpr13
	s_and_saveexec_b64 s[10:11], s[4:5]
	s_cbranch_execz .LBB0_12
; %bb.11:
	ds_read_b32 v20, v7 offset:2736
	ds_read_b32 v22, v7 offset:4464
	ds_read_b32 v21, v7 offset:6192
	ds_read_b32 v19, v7 offset:7920
	ds_read_b32 v13, v7 offset:9648
	ds_read_b32 v16, v11
	ds_read_b32 v18, v7 offset:11376
.LBB0_12:
	s_or_b64 exec, exec, s[10:11]
	v_mul_f32_e32 v0, v24, v37
	v_mul_f32_e32 v24, v25, v35
	;; [unrolled: 1-line block ×3, first 2 shown]
	v_fmac_f32_e32 v0, v46, v36
	v_fmac_f32_e32 v25, v44, v32
	v_mul_f32_e32 v26, v27, v31
	v_mul_f32_e32 v27, v28, v39
	;; [unrolled: 1-line block ×3, first 2 shown]
	v_fmac_f32_e32 v24, v47, v34
	v_fmac_f32_e32 v26, v45, v30
	;; [unrolled: 1-line block ×4, first 2 shown]
	v_sub_f32_e32 v0, v49, v0
	v_sub_f32_e32 v32, v17, v25
	v_fma_f32 v30, v49, 2.0, -v0
	v_sub_f32_e32 v24, v48, v24
	v_fma_f32 v33, v17, 2.0, -v32
	v_sub_f32_e32 v17, v23, v26
	v_sub_f32_e32 v29, v5, v27
	;; [unrolled: 1-line block ×3, first 2 shown]
	v_fma_f32 v31, v48, 2.0, -v24
	v_fma_f32 v23, v23, 2.0, -v17
	;; [unrolled: 1-line block ×4, first 2 shown]
	s_waitcnt lgkmcnt(0)
	s_barrier
	ds_write2_b32 v50, v30, v0 offset1:216
	ds_write2_b32 v51, v31, v24 offset1:216
	;; [unrolled: 1-line block ×6, first 2 shown]
	s_waitcnt lgkmcnt(0)
	s_barrier
	ds_read_b32 v5, v7
	ds_read_b32 v36, v7 offset:1728
	ds_read_b32 v1, v7 offset:3456
	;; [unrolled: 1-line block ×6, first 2 shown]
                                        ; implicit-def: $vgpr31
	s_and_saveexec_b64 s[10:11], s[4:5]
	s_cbranch_execz .LBB0_14
; %bb.13:
	ds_read_b32 v26, v7 offset:2736
	ds_read_b32 v29, v7 offset:4464
	;; [unrolled: 1-line block ×5, first 2 shown]
	ds_read_b32 v17, v11
	ds_read_b32 v24, v7 offset:11376
.LBB0_14:
	s_or_b64 exec, exec, s[10:11]
	s_load_dwordx2 s[0:1], s[0:1], 0x8
	v_and_b32_e32 v23, 0xffff, v80
	v_add_u32_e32 v28, 12, v23
	v_mul_lo_u32 v7, v14, v23
	v_mov_b32_e32 v66, 3
	v_mul_lo_u32 v30, v14, v28
	v_lshlrev_b32_sdwa v11, v66, v7 dst_sel:DWORD dst_unused:UNUSED_PAD src0_sel:DWORD src1_sel:BYTE_0
	v_lshlrev_b32_sdwa v35, v66, v30 dst_sel:DWORD dst_unused:UNUSED_PAD src0_sel:DWORD src1_sel:BYTE_0
	v_lshlrev_b32_sdwa v30, v66, v30 dst_sel:DWORD dst_unused:UNUSED_PAD src0_sel:DWORD src1_sel:BYTE_1
	v_lshlrev_b32_sdwa v7, v66, v7 dst_sel:DWORD dst_unused:UNUSED_PAD src0_sel:DWORD src1_sel:BYTE_1
	s_waitcnt lgkmcnt(0)
	global_load_dwordx2 v[44:45], v11, s[0:1]
	global_load_dwordx2 v[48:49], v7, s[0:1] offset:2048
	global_load_dwordx2 v[42:43], v35, s[0:1]
	global_load_dwordx2 v[46:47], v30, s[0:1] offset:2048
	v_or_b32_e32 v30, 24, v23
	v_mul_lo_u32 v11, v14, v30
	v_or_b32_e32 v83, 48, v23
	v_lshlrev_b32_sdwa v37, v66, v11 dst_sel:DWORD dst_unused:UNUSED_PAD src0_sel:DWORD src1_sel:BYTE_0
	s_movk_i32 s10, 0xab
	v_mul_u32_u24_e32 v7, 6, v23
	v_mul_lo_u32 v35, v14, v83
	v_lshlrev_b32_sdwa v11, v66, v11 dst_sel:DWORD dst_unused:UNUSED_PAD src0_sel:DWORD src1_sel:BYTE_1
	global_load_dwordx2 v[50:51], v37, s[0:1]
	global_load_dwordx2 v[52:53], v11, s[0:1] offset:2048
	v_mul_lo_u16_sdwa v37, v81, s10 dst_sel:DWORD dst_unused:UNUSED_PAD src0_sel:BYTE_0 src1_sel:DWORD
	v_add_u32_e32 v82, 36, v23
	v_lshlrev_b32_e32 v7, 3, v7
	v_lshlrev_b32_sdwa v11, v66, v35 dst_sel:DWORD dst_unused:UNUSED_PAD src0_sel:DWORD src1_sel:BYTE_0
	v_lshrrev_b16_e32 v37, 11, v37
	v_lshlrev_b32_sdwa v35, v66, v35 dst_sel:DWORD dst_unused:UNUSED_PAD src0_sel:DWORD src1_sel:BYTE_1
	global_load_dwordx4 v[56:59], v7, s[18:19] offset:48
	global_load_dwordx2 v[54:55], v11, s[0:1]
	global_load_dwordx2 v[60:61], v35, s[0:1] offset:2048
	v_mul_lo_u32 v11, v14, v82
	v_mul_lo_u16_e32 v37, 12, v37
	v_lshlrev_b32_sdwa v35, v66, v11 dst_sel:DWORD dst_unused:UNUSED_PAD src0_sel:DWORD src1_sel:BYTE_0
	v_lshlrev_b32_sdwa v11, v66, v11 dst_sel:DWORD dst_unused:UNUSED_PAD src0_sel:DWORD src1_sel:BYTE_1
	v_add_u32_e32 v84, 60, v23
	v_sub_u16_e32 v37, v81, v37
	global_load_dwordx2 v[62:63], v11, s[0:1] offset:2048
	global_load_dwordx2 v[64:65], v35, s[0:1]
	v_mul_lo_u32 v11, v14, v84
	v_and_b32_e32 v67, 0xff, v37
	v_lshlrev_b32_sdwa v35, v66, v11 dst_sel:DWORD dst_unused:UNUSED_PAD src0_sel:DWORD src1_sel:BYTE_1
	v_lshlrev_b32_sdwa v11, v66, v11 dst_sel:DWORD dst_unused:UNUSED_PAD src0_sel:DWORD src1_sel:BYTE_0
	v_or_b32_e32 v85, 0x48, v23
	v_mul_lo_u32 v37, v14, v67
	global_load_dwordx2 v[76:77], v35, s[0:1] offset:2048
	global_load_dwordx2 v[78:79], v11, s[0:1]
	v_mul_lo_u32 v11, v14, v85
	v_lshlrev_b32_sdwa v90, v66, v37 dst_sel:DWORD dst_unused:UNUSED_PAD src0_sel:DWORD src1_sel:BYTE_0
	v_lshlrev_b32_sdwa v35, v66, v11 dst_sel:DWORD dst_unused:UNUSED_PAD src0_sel:DWORD src1_sel:BYTE_0
	v_lshlrev_b32_sdwa v11, v66, v11 dst_sel:DWORD dst_unused:UNUSED_PAD src0_sel:DWORD src1_sel:BYTE_1
	v_lshlrev_b32_sdwa v37, v66, v37 dst_sel:DWORD dst_unused:UNUSED_PAD src0_sel:DWORD src1_sel:BYTE_1
	global_load_dwordx2 v[38:39], v90, s[0:1]
	global_load_dwordx2 v[40:41], v37, s[0:1] offset:2048
	global_load_dwordx2 v[86:87], v11, s[0:1] offset:2048
	global_load_dwordx2 v[88:89], v35, s[0:1]
	global_load_dwordx4 v[68:71], v7, s[18:19] offset:64
	global_load_dwordx4 v[72:75], v7, s[18:19] offset:80
	v_mov_b32_e32 v37, v0
	s_mov_b32 s10, 0xbf955555
	s_mov_b32 s22, 0x3eae86e6
	;; [unrolled: 1-line block ×5, first 2 shown]
	s_andn2_b64 vcc, exec, s[2:3]
	s_waitcnt vmcnt(17)
	v_mul_f32_e32 v7, v45, v49
	v_mul_f32_e32 v93, v44, v49
	s_waitcnt vmcnt(15)
	v_mul_f32_e32 v11, v43, v47
	v_fma_f32 v105, v42, v46, -v11
	v_mov_b32_e32 v11, v3
	v_mul_f32_e32 v102, v42, v47
	v_fma_f32 v96, v44, v48, -v7
	v_fmac_f32_e32 v93, v45, v48
	v_fmac_f32_e32 v102, v43, v46
	s_waitcnt vmcnt(13)
	v_mul_f32_e32 v35, v51, v53
	v_mul_f32_e32 v103, v50, v53
	v_fma_f32 v106, v50, v52, -v35
	v_fmac_f32_e32 v103, v51, v52
	v_mov_b32_e32 v35, v32
	s_waitcnt vmcnt(12)
	v_mul_f32_e32 v90, v10, v57
	v_mov_b32_e32 v50, v57
	v_fmac_f32_e32 v90, v36, v56
	s_waitcnt vmcnt(10)
	v_mul_f32_e32 v47, v55, v61
	v_mul_f32_e32 v104, v54, v61
	v_fma_f32 v107, v54, v60, -v47
	v_fmac_f32_e32 v104, v55, v60
	s_waitcnt vmcnt(9)
	v_mov_b32_e32 v92, v63
	s_waitcnt vmcnt(8)
	v_pk_mul_f32 v[94:95], v[64:65], v[62:63] op_sel:[1,0] op_sel_hi:[0,1]
	v_pk_mul_f32 v[42:43], v[64:65], v[92:93] op_sel:[1,0] op_sel_hi:[0,1]
	v_pk_fma_f32 v[54:55], v[64:65], v[62:63], v[42:43] neg_lo:[0,0,1] neg_hi:[0,0,1]
	s_waitcnt vmcnt(7)
	v_mov_b32_e32 v94, v77
	s_waitcnt vmcnt(6)
	v_pk_mul_f32 v[44:45], v[78:79], v[76:77] op_sel:[1,0] op_sel_hi:[0,1]
	v_mov_b32_e32 v44, v95
	v_pk_fma_f32 v[62:63], v[64:65], v[62:63], v[44:45] op_sel:[1,0,0] op_sel_hi:[0,1,1]
	v_pk_mul_f32 v[46:47], v[78:79], v[94:95] op_sel:[1,0] op_sel_hi:[0,1]
	v_mov_b32_e32 v48, v45
	s_waitcnt vmcnt(1)
	v_mov_b32_e32 v51, v68
	v_pk_mul_f32 v[36:37], v[36:37], v[50:51]
	v_mov_b32_e32 v57, v69
	v_pk_fma_f32 v[50:51], v[10:11], v[56:57], v[36:37] neg_lo:[0,0,1] neg_hi:[0,0,1]
	v_pk_fma_f32 v[10:11], v[10:11], v[56:57], v[36:37]
	v_mov_b32_e32 v36, v59
	v_mov_b32_e32 v37, v68
	v_pk_mul_f32 v[36:37], v[2:3], v[36:37]
	v_mul_f32_e32 v3, v1, v59
	v_fma_f32 v53, v2, v58, -v3
	v_mov_b32_e32 v3, v58
	v_mov_b32_e32 v58, v71
	s_waitcnt vmcnt(0)
	v_mov_b32_e32 v59, v72
	v_mul_f32_e32 v7, v33, v73
	v_pk_mul_f32 v[58:59], v[32:33], v[58:59]
	v_fma_f32 v33, v9, v72, -v7
	v_mov_b32_e32 v72, v70
	v_pk_fma_f32 v[64:65], v[8:9], v[72:73], v[58:59]
	v_mov_b32_e32 v72, v75
	v_mov_b32_e32 v73, v70
	;; [unrolled: 1-line block ×4, first 2 shown]
	v_mul_f32_e32 v60, v6, v75
	v_mov_b32_e32 v68, v74
	v_pk_fma_f32 v[58:59], v[8:9], v[70:71], v[58:59] neg_lo:[0,0,1] neg_hi:[0,0,1]
	v_mov_b32_e32 v69, v71
	v_mov_b32_e32 v7, v8
	v_pk_mul_f32 v[8:9], v[34:35], v[72:73]
	v_pk_fma_f32 v[56:57], v[0:1], v[10:11], v[36:37] op_sel:[0,0,1] op_sel_hi:[1,1,0] neg_lo:[1,0,0] neg_hi:[1,0,0]
	v_pk_fma_f32 v[36:37], v[0:1], v[2:3], v[36:37] op_sel:[0,0,1] op_sel_hi:[1,1,0]
	v_fmac_f32_e32 v60, v34, v74
	v_pk_fma_f32 v[34:35], v[6:7], v[68:69], v[8:9] neg_lo:[0,0,1] neg_hi:[0,0,1]
	v_pk_fma_f32 v[6:7], v[6:7], v[68:69], v[8:9]
	v_mov_b32_e32 v91, v50
	v_mov_b32_e32 v61, v34
	;; [unrolled: 1-line block ×10, first 2 shown]
	v_add_f32_e32 v9, v90, v60
	v_pk_add_f32 v[60:61], v[90:91], v[60:61] neg_lo:[0,1] neg_hi:[0,1]
	v_add_f32_e32 v6, v53, v33
	v_pk_add_f32 v[32:33], v[52:53], v[32:33] neg_lo:[0,1] neg_hi:[0,1]
	v_pk_add_f32 v[10:11], v[36:37], v[10:11] neg_lo:[0,1] neg_hi:[0,1]
	v_mov_b32_e32 v59, v65
	v_mov_b32_e32 v35, v7
	v_mov_b32_e32 v36, v10
	v_mov_b32_e32 v37, v61
	v_mov_b32_e32 v52, v32
	v_mov_b32_e32 v53, v11
	v_pk_add_f32 v[34:35], v[50:51], v[34:35]
	v_pk_add_f32 v[50:51], v[56:57], v[58:59]
	v_pk_add_f32 v[36:37], v[36:37], v[52:53] neg_lo:[0,1] neg_hi:[0,1]
	v_mov_b32_e32 v52, v60
	v_pk_add_f32 v[56:57], v[10:11], v[32:33]
	v_mov_b32_e32 v11, v33
	v_pk_add_f32 v[10:11], v[52:53], v[10:11] neg_lo:[0,1] neg_hi:[0,1]
	v_add_f32_e32 v52, v6, v34
	v_mov_b32_e32 v53, v35
	v_add_f32_e32 v59, v51, v9
	v_mov_b32_e32 v58, v50
	v_pk_fma_f32 v[42:43], v[78:79], v[76:77], v[46:47] neg_lo:[0,0,1] neg_hi:[0,0,1]
	v_pk_fma_f32 v[46:47], v[78:79], v[76:77], v[48:49] op_sel:[1,0,0] op_sel_hi:[0,1,1]
	v_mov_b32_e32 v44, v87
	v_pk_mul_f32 v[48:49], v[88:89], v[86:87] op_sel:[1,0] op_sel_hi:[0,1]
	v_pk_add_f32 v[52:53], v[52:53], v[58:59]
	v_pk_mul_f32 v[44:45], v[88:89], v[44:45] op_sel:[1,0] op_sel_hi:[0,1]
	v_mov_b32_e32 v48, v49
	v_pk_add_f32 v[4:5], v[4:5], v[52:53]
	v_pk_fma_f32 v[44:45], v[88:89], v[86:87], v[44:45] neg_lo:[0,0,1] neg_hi:[0,0,1]
	v_pk_fma_f32 v[48:49], v[88:89], v[86:87], v[48:49] op_sel:[1,0,0] op_sel_hi:[0,1,1]
	v_mul_f32_e32 v7, v5, v93
	v_pk_fma_f32 v[86:87], v[52:53], s[10:11], v[4:5] op_sel_hi:[1,0,1]
	s_mov_b32 s10, 0x3d64c772
	v_fma_f32 v70, v4, v96, -v7
	v_mul_f32_e32 v71, v4, v93
	v_mov_b32_e32 v8, v50
	v_mov_b32_e32 v7, v35
	s_mov_b32 s11, 0x3f4a47b2
	v_fmac_f32_e32 v71, v5, v96
	v_pk_add_f32 v[4:5], v[8:9], v[6:7] neg_lo:[0,1] neg_hi:[0,1]
	s_mov_b32 s20, s11
	s_mov_b32 s21, s10
	v_pk_mul_f32 v[90:91], v[36:37], s[24:25]
	v_pk_add_f32 v[36:37], v[34:35], v[50:51] neg_lo:[0,1] neg_hi:[0,1]
	v_pk_mul_f32 v[4:5], v[4:5], s[10:11]
	v_mov_b32_e32 v7, v51
	v_mov_b32_e32 v35, v9
	v_pk_mul_f32 v[8:9], v[36:37], s[20:21]
	v_pk_add_f32 v[88:89], v[56:57], v[60:61]
	v_pk_fma_f32 v[52:53], v[36:37], s[20:21], v[4:5]
	v_pk_fma_f32 v[56:57], v[10:11], s[22:23], v[90:91]
	v_pk_add_f32 v[6:7], v[6:7], v[34:35] neg_lo:[0,1] neg_hi:[0,1]
	v_pk_mul_f32 v[76:77], v[10:11], s[22:23]
	s_mov_b32 s22, 0x3f3bfb3b
	v_mov_b32_e32 v11, v5
	v_mov_b32_e32 v5, v9
	v_pk_add_f32 v[32:33], v[32:33], v[60:61] neg_lo:[0,1] neg_hi:[0,1]
	s_mov_b32 s20, 0x3f5ff5aa
	v_mov_b32_e32 v10, v8
	v_mov_b32_e32 v34, v76
	;; [unrolled: 1-line block ×3, first 2 shown]
	v_pk_fma_f32 v[100:101], v[6:7], s[22:23], v[4:5] op_sel_hi:[1,0,1] neg_lo:[0,0,1] neg_hi:[0,0,1]
	v_add_u32_e32 v4, 12, v67
	v_mul_u32_u24_e32 v0, 6, v67
	s_mov_b32 s10, 0x3ee1c552
	v_pk_fma_f32 v[10:11], v[6:7], s[22:23], v[10:11] op_sel_hi:[1,0,1] neg_lo:[1,0,1] neg_hi:[1,0,1]
	v_pk_fma_f32 v[34:35], v[32:33], s[20:21], v[34:35] op_sel_hi:[1,0,1] neg_lo:[1,0,1] neg_hi:[1,0,1]
	v_mul_lo_u32 v4, v14, v4
	v_add_u32_e32 v6, 24, v67
	v_lshlrev_b32_e32 v78, 3, v0
	v_pk_add_f32 v[52:53], v[52:53], v[86:87]
	v_pk_fma_f32 v[56:57], v[88:89], s[10:11], v[56:57] op_sel_hi:[1,0,1]
	v_pk_add_f32 v[10:11], v[10:11], v[86:87]
	v_pk_fma_f32 v[34:35], v[88:89], s[10:11], v[34:35] op_sel_hi:[1,0,1]
	v_lshlrev_b32_sdwa v5, v66, v4 dst_sel:DWORD dst_unused:UNUSED_PAD src0_sel:DWORD src1_sel:BYTE_0
	v_lshlrev_b32_sdwa v4, v66, v4 dst_sel:DWORD dst_unused:UNUSED_PAD src0_sel:DWORD src1_sel:BYTE_1
	v_mul_lo_u32 v6, v14, v6
	global_load_dwordx4 v[0:3], v78, s[18:19] offset:48
	v_pk_add_f32 v[92:93], v[56:57], v[52:53]
	v_pk_add_f32 v[94:95], v[52:53], v[56:57] neg_lo:[0,1] neg_hi:[0,1]
	v_pk_add_f32 v[96:97], v[34:35], v[10:11]
	v_pk_add_f32 v[98:99], v[10:11], v[34:35] neg_lo:[0,1] neg_hi:[0,1]
	v_lshlrev_b32_sdwa v7, v66, v6 dst_sel:DWORD dst_unused:UNUSED_PAD src0_sel:DWORD src1_sel:BYTE_0
	v_lshlrev_b32_sdwa v6, v66, v6 dst_sel:DWORD dst_unused:UNUSED_PAD src0_sel:DWORD src1_sel:BYTE_1
	global_load_dwordx2 v[50:51], v5, s[0:1]
	global_load_dwordx2 v[52:53], v4, s[0:1] offset:2048
	global_load_dwordx2 v[34:35], v7, s[0:1]
	global_load_dwordx2 v[36:37], v6, s[0:1] offset:2048
	v_add_u32_e32 v4, 36, v67
	v_mul_lo_u32 v4, v14, v4
	v_or_b32_e32 v6, 48, v67
	v_lshlrev_b32_sdwa v5, v66, v4 dst_sel:DWORD dst_unused:UNUSED_PAD src0_sel:DWORD src1_sel:BYTE_0
	v_lshlrev_b32_sdwa v4, v66, v4 dst_sel:DWORD dst_unused:UNUSED_PAD src0_sel:DWORD src1_sel:BYTE_1
	v_mul_lo_u32 v6, v14, v6
	v_lshlrev_b32_sdwa v7, v66, v6 dst_sel:DWORD dst_unused:UNUSED_PAD src0_sel:DWORD src1_sel:BYTE_0
	v_lshlrev_b32_sdwa v6, v66, v6 dst_sel:DWORD dst_unused:UNUSED_PAD src0_sel:DWORD src1_sel:BYTE_1
	global_load_dwordx2 v[60:61], v5, s[0:1]
	global_load_dwordx2 v[64:65], v4, s[0:1] offset:2048
	global_load_dwordx2 v[56:57], v7, s[0:1]
	global_load_dwordx2 v[58:59], v6, s[0:1] offset:2048
	v_add_u32_e32 v4, 60, v67
	v_mul_lo_u32 v4, v14, v4
	v_lshlrev_b32_sdwa v76, v66, v4 dst_sel:DWORD dst_unused:UNUSED_PAD src0_sel:DWORD src1_sel:BYTE_0
	v_lshlrev_b32_sdwa v79, v66, v4 dst_sel:DWORD dst_unused:UNUSED_PAD src0_sel:DWORD src1_sel:BYTE_1
	v_add_u32_e32 v4, 0x48, v67
	v_mul_lo_u32 v4, v14, v4
	v_lshlrev_b32_sdwa v91, v66, v4 dst_sel:DWORD dst_unused:UNUSED_PAD src0_sel:DWORD src1_sel:BYTE_0
	v_lshlrev_b32_sdwa v108, v66, v4 dst_sel:DWORD dst_unused:UNUSED_PAD src0_sel:DWORD src1_sel:BYTE_1
	global_load_dwordx2 v[72:73], v76, s[0:1]
	global_load_dwordx2 v[74:75], v79, s[0:1] offset:2048
	global_load_dwordx2 v[66:67], v91, s[0:1]
	global_load_dwordx2 v[68:69], v108, s[0:1] offset:2048
	global_load_dwordx4 v[4:7], v78, s[18:19] offset:80
	global_load_dwordx4 v[8:11], v78, s[18:19] offset:64
	v_mov_b32_e32 v91, v77
	v_pk_fma_f32 v[32:33], v[32:33], s[20:21], v[90:91] op_sel_hi:[1,0,1] neg_lo:[0,0,1] neg_hi:[0,0,1]
	v_pk_add_f32 v[86:87], v[100:101], v[86:87]
	v_pk_fma_f32 v[32:33], v[88:89], s[10:11], v[32:33] op_sel_hi:[1,0,1]
	v_mov_b32_e32 v100, v98
	v_pk_add_f32 v[88:89], v[86:87], v[32:33] neg_lo:[0,1] neg_hi:[0,1]
	v_pk_add_f32 v[32:33], v[86:87], v[32:33]
	v_mov_b32_e32 v87, v88
	v_mov_b32_e32 v86, v33
	v_pk_mul_f32 v[62:63], v[86:87], v[62:63] op_sel_hi:[1,0]
	v_mov_b32_e32 v86, v88
	v_mov_b32_e32 v87, v33
	v_mul_f32_e32 v33, v89, v104
	v_pk_fma_f32 v[86:87], v[86:87], v[54:55], v[62:63] op_sel_hi:[1,0,1]
	v_pk_fma_f32 v[62:63], v[88:89], v[54:55], v[62:63] neg_lo:[0,0,1] neg_hi:[0,0,1]
	v_fma_f32 v54, v32, v107, -v33
	v_mul_f32_e32 v55, v32, v104
	v_mov_b32_e32 v32, v97
	v_mov_b32_e32 v33, v98
	;; [unrolled: 1-line block ×3, first 2 shown]
	v_pk_mul_f32 v[32:33], v[32:33], v[46:47] op_sel_hi:[1,0]
	v_mul_f32_e32 v76, v95, v102
	v_pk_fma_f32 v[46:47], v[98:99], v[42:43], v[32:33] neg_lo:[0,0,1] neg_hi:[0,0,1]
	v_pk_fma_f32 v[32:33], v[100:101], v[42:43], v[32:33] op_sel_hi:[1,0,1]
	v_mov_b32_e32 v42, v93
	v_mov_b32_e32 v43, v94
	;; [unrolled: 1-line block ×4, first 2 shown]
	v_pk_mul_f32 v[48:49], v[42:43], v[48:49] op_sel_hi:[1,0]
	v_fma_f32 v78, v92, v105, -v76
	v_mul_f32_e32 v79, v92, v102
	v_mul_f32_e32 v76, v99, v103
	;; [unrolled: 1-line block ×3, first 2 shown]
	v_pk_fma_f32 v[42:43], v[94:95], v[44:45], v[48:49] neg_lo:[0,0,1] neg_hi:[0,0,1]
	v_pk_fma_f32 v[44:45], v[90:91], v[44:45], v[48:49] op_sel_hi:[1,0,1]
	v_fmac_f32_e32 v79, v95, v105
	v_fma_f32 v76, v96, v106, -v76
	v_fmac_f32_e32 v77, v99, v106
	v_mov_b32_e32 v63, v87
	v_fmac_f32_e32 v55, v89, v107
	v_mov_b32_e32 v47, v33
	v_mov_b32_e32 v43, v45
	s_cbranch_vccnz .LBB0_16
; %bb.15:
	v_mad_u64_u32 v[32:33], s[0:1], s8, v12, 0
	v_mov_b32_e32 v44, v33
	v_mad_u64_u32 v[44:45], s[0:1], s9, v12, v[44:45]
	v_mov_b32_e32 v33, v44
	;; [unrolled: 2-line block ×3, first 2 shown]
	v_mad_u64_u32 v[48:49], s[0:1], s13, v23, v[48:49]
	s_lshl_b64 s[0:1], s[6:7], 3
	s_add_u32 s0, s14, s0
	s_addc_u32 s1, s15, s1
	v_mov_b32_e32 v45, v48
	v_lshl_add_u64 v[32:33], v[32:33], 3, s[0:1]
	v_lshl_add_u64 v[44:45], v[44:45], 3, v[32:33]
	global_store_dwordx2 v[44:45], v[70:71], off
	v_mad_u64_u32 v[44:45], s[0:1], s12, v28, 0
	v_mov_b32_e32 v48, v45
	v_mad_u64_u32 v[48:49], s[0:1], s13, v28, v[48:49]
	v_mov_b32_e32 v45, v48
	v_lshl_add_u64 v[44:45], v[44:45], 3, v[32:33]
	global_store_dwordx2 v[44:45], v[78:79], off
	v_mad_u64_u32 v[44:45], s[0:1], s12, v30, 0
	v_mov_b32_e32 v48, v45
	v_mad_u64_u32 v[48:49], s[0:1], s13, v30, v[48:49]
	v_mov_b32_e32 v45, v48
	;; [unrolled: 6-line block ×6, first 2 shown]
	v_lshl_add_u64 v[44:45], v[44:45], 3, v[32:33]
	s_and_b64 s[0:1], s[4:5], exec
	global_store_dwordx2 v[44:45], v[42:43], off
	s_cbranch_execz .LBB0_17
	s_branch .LBB0_20
.LBB0_16:
	s_mov_b64 s[0:1], 0
                                        ; implicit-def: $vgpr32_vgpr33
.LBB0_17:
	v_cmp_gt_u64_e32 vcc, s[16:17], v[14:15]
                                        ; implicit-def: $vgpr32_vgpr33
	s_and_saveexec_b64 s[2:3], vcc
	s_cbranch_execz .LBB0_19
; %bb.18:
	v_mad_u64_u32 v[14:15], s[10:11], s8, v12, 0
	v_mov_b32_e32 v32, v15
	v_mad_u64_u32 v[32:33], s[8:9], s9, v12, v[32:33]
	v_mad_u64_u32 v[44:45], s[8:9], s12, v23, 0
	s_lshl_b64 s[6:7], s[6:7], 3
	v_mov_b32_e32 v12, v45
	s_add_u32 s6, s14, s6
	v_mov_b32_e32 v15, v32
	v_mad_u64_u32 v[32:33], s[8:9], s13, v23, v[12:13]
	s_addc_u32 s7, s15, s7
	v_mov_b32_e32 v45, v32
	v_lshl_add_u64 v[32:33], v[14:15], 3, s[6:7]
	v_lshl_add_u64 v[14:15], v[44:45], 3, v[32:33]
	global_store_dwordx2 v[14:15], v[70:71], off
	v_mad_u64_u32 v[14:15], s[6:7], s12, v28, 0
	v_mov_b32_e32 v12, v15
	v_mad_u64_u32 v[44:45], s[6:7], s13, v28, v[12:13]
	v_mov_b32_e32 v15, v44
	v_lshl_add_u64 v[14:15], v[14:15], 3, v[32:33]
	global_store_dwordx2 v[14:15], v[78:79], off
	v_mad_u64_u32 v[14:15], s[6:7], s12, v30, 0
	v_mov_b32_e32 v12, v15
	v_mad_u64_u32 v[44:45], s[6:7], s13, v30, v[12:13]
	v_mov_b32_e32 v15, v44
	;; [unrolled: 6-line block ×5, first 2 shown]
	v_lshl_add_u64 v[14:15], v[14:15], 3, v[32:33]
	v_or_b32_e32 v23, 0x48, v23
	global_store_dwordx2 v[14:15], v[46:47], off
	v_mad_u64_u32 v[14:15], s[6:7], s12, v23, 0
	v_mov_b32_e32 v12, v15
	v_mad_u64_u32 v[44:45], s[6:7], s13, v23, v[12:13]
	v_mov_b32_e32 v15, v44
	s_andn2_b64 s[0:1], s[0:1], exec
	s_and_b64 s[4:5], s[4:5], exec
	v_lshl_add_u64 v[14:15], v[14:15], 3, v[32:33]
	s_or_b64 s[0:1], s[0:1], s[4:5]
	global_store_dwordx2 v[14:15], v[42:43], off
.LBB0_19:
	s_or_b64 exec, exec, s[2:3]
.LBB0_20:
	s_and_saveexec_b64 s[2:3], s[0:1]
	s_cbranch_execnz .LBB0_22
; %bb.21:
	s_endpgm
.LBB0_22:
	v_mul_f32_e32 v12, v39, v41
	v_fma_f32 v62, v38, v40, -v12
	s_waitcnt vmcnt(12)
	v_mul_f32_e32 v12, v51, v53
	v_fma_f32 v70, v50, v52, -v12
	s_waitcnt vmcnt(10)
	v_mul_f32_e32 v12, v35, v37
	v_mul_f32_e32 v77, v34, v37
	v_fma_f32 v76, v34, v36, -v12
	v_fmac_f32_e32 v77, v35, v36
	s_waitcnt vmcnt(8)
	v_mov_b32_e32 v12, v65
	v_pk_mul_f32 v[36:37], v[60:61], v[64:65] op_sel:[1,0] op_sel_hi:[0,1]
	v_pk_mul_f32 v[34:35], v[60:61], v[12:13] op_sel:[1,0] op_sel_hi:[0,1]
	v_mov_b32_e32 v12, v37
	v_mul_f32_e32 v63, v38, v41
	v_pk_fma_f32 v[36:37], v[60:61], v[64:65], v[12:13] op_sel:[1,0,0] op_sel_hi:[0,1,1]
	s_waitcnt vmcnt(6)
	v_mul_f32_e32 v12, v57, v59
	v_fmac_f32_e32 v63, v39, v40
	v_pk_fma_f32 v[34:35], v[60:61], v[64:65], v[34:35] neg_lo:[0,0,1] neg_hi:[0,0,1]
	v_fma_f32 v60, v56, v58, -v12
	s_waitcnt vmcnt(4)
	v_mov_b32_e32 v12, v75
	v_pk_mul_f32 v[40:41], v[72:73], v[74:75] op_sel:[1,0] op_sel_hi:[0,1]
	v_mul_f32_e32 v71, v50, v53
	v_pk_mul_f32 v[38:39], v[72:73], v[12:13] op_sel:[1,0] op_sel_hi:[0,1]
	v_mov_b32_e32 v12, v41
	v_fmac_f32_e32 v71, v51, v52
	v_pk_fma_f32 v[40:41], v[72:73], v[74:75], v[12:13] op_sel:[1,0,0] op_sel_hi:[0,1,1]
	s_waitcnt vmcnt(2)
	v_mov_b32_e32 v12, v69
	v_pk_mul_f32 v[52:53], v[66:67], v[68:69] op_sel:[1,0] op_sel_hi:[0,1]
	v_mov_b32_e32 v14, v3
	s_waitcnt vmcnt(0)
	v_mov_b32_e32 v15, v8
	v_pk_mul_f32 v[50:51], v[66:67], v[12:13] op_sel:[1,0] op_sel_hi:[0,1]
	v_mov_b32_e32 v12, v53
	v_mul_f32_e32 v3, v29, v3
	v_mov_b32_e32 v23, v21
	v_pk_fma_f32 v[52:53], v[66:67], v[68:69], v[12:13] op_sel:[1,0,0] op_sel_hi:[0,1,1]
	v_fma_f32 v3, v22, v2, -v3
	v_pk_mul_f32 v[14:15], v[22:23], v[14:15]
	v_mov_b32_e32 v28, v27
	v_mov_b32_e32 v12, v9
	;; [unrolled: 1-line block ×4, first 2 shown]
	v_pk_fma_f32 v[54:55], v[28:29], v[12:13], v[14:15] op_sel:[0,0,1] op_sel_hi:[1,1,0] neg_lo:[1,0,0] neg_hi:[1,0,0]
	v_pk_fma_f32 v[14:15], v[28:29], v[22:23], v[14:15] op_sel:[0,0,1] op_sel_hi:[1,1,0]
	v_mov_b32_e32 v22, v1
	v_mov_b32_e32 v23, v8
	v_mul_f32_e32 v44, v20, v1
	v_mul_f32_e32 v30, v31, v5
	v_pk_mul_f32 v[22:23], v[26:27], v[22:23]
	v_mov_b32_e32 v1, v9
	v_mov_b32_e32 v42, v11
	;; [unrolled: 1-line block ×3, first 2 shown]
	v_fmac_f32_e32 v44, v26, v0
	v_pk_fma_f32 v[8:9], v[20:21], v[0:1], v[22:23] neg_lo:[0,0,1] neg_hi:[0,0,1]
	v_pk_fma_f32 v[0:1], v[20:21], v[0:1], v[22:23]
	v_fma_f32 v21, v13, v4, -v30
	v_mov_b32_e32 v30, v25
	v_mul_f32_e32 v46, v18, v7
	v_pk_mul_f32 v[22:23], v[30:31], v[42:43]
	v_mov_b32_e32 v12, v19
	v_mov_b32_e32 v4, v10
	v_fmac_f32_e32 v46, v24, v6
	v_pk_fma_f32 v[4:5], v[12:13], v[4:5], v[22:23]
	v_mov_b32_e32 v12, v6
	v_mov_b32_e32 v6, v7
	v_mov_b32_e32 v7, v10
	v_mov_b32_e32 v0, v19
	v_mov_b32_e32 v13, v11
	v_pk_mul_f32 v[6:7], v[24:25], v[6:7]
	v_pk_fma_f32 v[26:27], v[0:1], v[10:11], v[22:23] op_sel_hi:[0,1,1] neg_lo:[0,0,1] neg_hi:[0,0,1]
	v_pk_fma_f32 v[10:11], v[18:19], v[12:13], v[6:7] neg_lo:[0,0,1] neg_hi:[0,0,1]
	v_pk_fma_f32 v[6:7], v[18:19], v[12:13], v[6:7]
	v_mov_b32_e32 v9, v1
	v_mov_b32_e32 v11, v7
	v_mov_b32_e32 v55, v15
	v_mov_b32_e32 v27, v5
	v_mov_b32_e32 v45, v8
	v_mov_b32_e32 v47, v10
	v_mov_b32_e32 v2, v15
	v_mov_b32_e32 v20, v5
	v_pk_add_f32 v[8:9], v[8:9], v[10:11]
	v_mov_b32_e32 v6, v7
	v_mov_b32_e32 v7, v26
	v_mov_b32_e32 v10, v1
	v_mov_b32_e32 v11, v54
	v_add_f32_e32 v49, v44, v46
	v_pk_add_f32 v[12:13], v[44:45], v[46:47] neg_lo:[0,1] neg_hi:[0,1]
	v_add_f32_e32 v0, v3, v21
	v_pk_add_f32 v[2:3], v[2:3], v[20:21] neg_lo:[0,1] neg_hi:[0,1]
	v_pk_add_f32 v[4:5], v[54:55], v[26:27]
	v_pk_add_f32 v[6:7], v[6:7], v[10:11] neg_lo:[0,1] neg_hi:[0,1]
	s_mov_b32 s6, 0x3eae86e6
	v_add_f32_e32 v10, v0, v8
	v_add_f32_e32 v15, v5, v49
	v_mov_b32_e32 v48, v4
	v_mov_b32_e32 v1, v9
	;; [unrolled: 1-line block ×8, first 2 shown]
	s_mov_b32 s2, 0x3d64c772
	s_mov_b32 s7, 0xbf08b237
	v_pk_add_f32 v[18:19], v[48:49], v[0:1] neg_lo:[0,1] neg_hi:[0,1]
	v_pk_add_f32 v[22:23], v[6:7], v[2:3]
	v_pk_add_f32 v[24:25], v[24:25], v[26:27] neg_lo:[0,1] neg_hi:[0,1]
	v_mov_b32_e32 v26, v12
	v_mov_b32_e32 v7, v3
	v_pk_add_f32 v[10:11], v[10:11], v[14:15]
	s_mov_b32 s3, 0x3f4a47b2
	s_mov_b32 s8, s7
	;; [unrolled: 1-line block ×3, first 2 shown]
	v_pk_add_f32 v[20:21], v[8:9], v[4:5] neg_lo:[0,1] neg_hi:[0,1]
	v_pk_add_f32 v[6:7], v[26:27], v[6:7] neg_lo:[0,1] neg_hi:[0,1]
	v_pk_add_f32 v[16:17], v[16:17], v[10:11]
	s_mov_b32 s0, 0xbf955555
	v_pk_mul_f32 v[18:19], v[18:19], s[2:3]
	s_mov_b32 s4, s3
	s_mov_b32 s5, s2
	v_pk_mul_f32 v[24:25], v[24:25], s[8:9]
	v_pk_add_f32 v[14:15], v[22:23], v[12:13]
	v_pk_mul_f32 v[22:23], v[20:21], s[4:5]
	s_mov_b32 s2, 0x3ee1c552
	v_pk_mul_f32 v[26:27], v[6:7], s[6:7]
	v_pk_fma_f32 v[10:11], v[10:11], s[0:1], v[16:17] op_sel_hi:[1,0,1]
	v_pk_fma_f32 v[20:21], v[20:21], s[4:5], v[18:19]
	v_pk_fma_f32 v[6:7], v[6:7], s[6:7], v[24:25]
	v_pk_add_f32 v[20:21], v[20:21], v[10:11]
	v_pk_fma_f32 v[6:7], v[14:15], s[2:3], v[6:7] op_sel_hi:[1,0,1]
	v_mul_f32_e32 v1, v17, v63
	v_pk_add_f32 v[28:29], v[6:7], v[20:21]
	v_pk_add_f32 v[6:7], v[20:21], v[6:7] neg_lo:[0,1] neg_hi:[0,1]
	v_fma_f32 v30, v16, v62, -v1
	v_mul_f32_e32 v1, v7, v71
	v_mul_f32_e32 v31, v16, v63
	v_fma_f32 v16, v28, v70, -v1
	v_mov_b32_e32 v1, v5
	v_mov_b32_e32 v9, v49
	v_pk_add_f32 v[0:1], v[0:1], v[8:9] neg_lo:[0,1] neg_hi:[0,1]
	v_pk_add_f32 v[2:3], v[2:3], v[12:13] neg_lo:[0,1] neg_hi:[0,1]
	s_mov_b32 s0, 0x3f3bfb3b
	s_mov_b32 s4, 0x3f5ff5aa
	v_mov_b32_e32 v4, v22
	v_mov_b32_e32 v5, v19
	;; [unrolled: 1-line block ×4, first 2 shown]
	v_pk_fma_f32 v[4:5], v[0:1], s[0:1], v[4:5] op_sel_hi:[1,0,1] neg_lo:[1,0,1] neg_hi:[1,0,1]
	v_pk_fma_f32 v[8:9], v[2:3], s[4:5], v[8:9] op_sel_hi:[1,0,1] neg_lo:[1,0,1] neg_hi:[1,0,1]
	v_pk_add_f32 v[4:5], v[4:5], v[10:11]
	v_pk_fma_f32 v[8:9], v[14:15], s[2:3], v[8:9] op_sel_hi:[1,0,1]
	v_mov_b32_e32 v25, v27
	v_pk_add_f32 v[12:13], v[8:9], v[4:5]
	v_pk_add_f32 v[4:5], v[4:5], v[8:9] neg_lo:[0,1] neg_hi:[0,1]
	v_pk_fma_f32 v[2:3], v[2:3], s[4:5], v[24:25] op_sel_hi:[1,0,1] neg_lo:[0,0,1] neg_hi:[0,0,1]
	v_mul_f32_e32 v19, v5, v77
	v_fma_f32 v42, v12, v76, -v19
	v_mov_b32_e32 v19, v23
	v_pk_fma_f32 v[0:1], v[0:1], s[0:1], v[18:19] op_sel_hi:[1,0,1] neg_lo:[0,0,1] neg_hi:[0,0,1]
	v_pk_fma_f32 v[2:3], v[14:15], s[2:3], v[2:3] op_sel_hi:[1,0,1]
	v_pk_add_f32 v[0:1], v[0:1], v[10:11]
	v_mul_f32_e32 v56, v56, v59
	v_pk_add_f32 v[10:11], v[0:1], v[2:3] neg_lo:[0,1] neg_hi:[0,1]
	v_pk_add_f32 v[0:1], v[0:1], v[2:3]
	v_fmac_f32_e32 v56, v57, v58
	v_mov_b32_e32 v14, v1
	v_mov_b32_e32 v15, v10
	;; [unrolled: 1-line block ×4, first 2 shown]
	v_pk_mul_f32 v[14:15], v[14:15], v[36:37] op_sel_hi:[1,0]
	v_mul_f32_e32 v1, v11, v56
	v_pk_fma_f32 v[18:19], v[10:11], v[34:35], v[14:15] neg_lo:[0,0,1] neg_hi:[0,0,1]
	v_pk_fma_f32 v[2:3], v[2:3], v[34:35], v[14:15] op_sel_hi:[1,0,1]
	v_fma_f32 v14, v0, v60, -v1
	v_mul_f32_e32 v15, v0, v56
	v_mov_b32_e32 v0, v13
	v_mov_b32_e32 v1, v4
	v_pk_fma_f32 v[38:39], v[72:73], v[74:75], v[38:39] neg_lo:[0,0,1] neg_hi:[0,0,1]
	v_mov_b32_e32 v8, v4
	v_mov_b32_e32 v9, v13
	v_mul_f32_e32 v43, v12, v77
	v_pk_mul_f32 v[0:1], v[0:1], v[40:41] op_sel_hi:[1,0]
	v_fmac_f32_e32 v43, v5, v76
	v_fmac_f32_e32 v15, v11, v60
	v_pk_fma_f32 v[4:5], v[4:5], v[38:39], v[0:1] neg_lo:[0,0,1] neg_hi:[0,0,1]
	v_pk_fma_f32 v[0:1], v[8:9], v[38:39], v[0:1] op_sel_hi:[1,0,1]
	v_mad_u64_u32 v[10:11], s[0:1], s12, v81, 0
	v_mov_b32_e32 v0, v11
	v_mad_u64_u32 v[12:13], s[0:1], s13, v81, v[0:1]
	v_mov_b32_e32 v11, v12
	v_fmac_f32_e32 v31, v17, v62
	v_lshl_add_u64 v[10:11], v[10:11], 3, v[32:33]
	v_add_u32_e32 v2, 19, v80
	global_store_dwordx2 v[10:11], v[30:31], off
	v_mad_u64_u32 v[10:11], s[0:1], s12, v2, 0
	v_mov_b32_e32 v0, v11
	v_mad_u64_u32 v[12:13], s[0:1], s13, v2, v[0:1]
	v_mul_f32_e32 v17, v28, v71
	v_mov_b32_e32 v11, v12
	v_fmac_f32_e32 v17, v7, v70
	v_lshl_add_u64 v[10:11], v[10:11], 3, v[32:33]
	v_add_u32_e32 v2, 31, v80
	global_store_dwordx2 v[10:11], v[16:17], off
	v_mad_u64_u32 v[10:11], s[0:1], s12, v2, 0
	v_mov_b32_e32 v0, v11
	v_mad_u64_u32 v[12:13], s[0:1], s13, v2, v[0:1]
	v_mov_b32_e32 v11, v12
	v_lshl_add_u64 v[10:11], v[10:11], 3, v[32:33]
	v_add_u32_e32 v2, 43, v80
	global_store_dwordx2 v[10:11], v[42:43], off
	v_mad_u64_u32 v[10:11], s[0:1], s12, v2, 0
	v_mov_b32_e32 v0, v11
	v_mad_u64_u32 v[12:13], s[0:1], s13, v2, v[0:1]
	v_add_u32_e32 v5, 55, v80
	v_mov_b32_e32 v11, v12
	v_mov_b32_e32 v19, v3
	v_mad_u64_u32 v[2:3], s[0:1], s12, v5, 0
	v_lshl_add_u64 v[10:11], v[10:11], 3, v[32:33]
	v_mov_b32_e32 v0, v3
	global_store_dwordx2 v[10:11], v[18:19], off
	v_mad_u64_u32 v[10:11], s[0:1], s13, v5, v[0:1]
	v_mov_b32_e32 v3, v10
	v_lshl_add_u64 v[2:3], v[2:3], 3, v[32:33]
	v_add_u32_e32 v5, 0x43, v80
	global_store_dwordx2 v[2:3], v[14:15], off
	v_mad_u64_u32 v[2:3], s[0:1], s12, v5, 0
	v_mov_b32_e32 v0, v3
	v_mad_u64_u32 v[10:11], s[0:1], s13, v5, v[0:1]
	v_mov_b32_e32 v3, v10
	v_lshl_add_u64 v[2:3], v[2:3], 3, v[32:33]
	v_mov_b32_e32 v5, v1
	global_store_dwordx2 v[2:3], v[4:5], off
	v_add_u32_e32 v3, 0x4f, v80
	v_mad_u64_u32 v[0:1], s[0:1], s12, v3, 0
	v_mov_b32_e32 v8, v29
	v_mov_b32_e32 v9, v6
	;; [unrolled: 1-line block ×3, first 2 shown]
	v_pk_fma_f32 v[50:51], v[66:67], v[68:69], v[50:51] neg_lo:[0,0,1] neg_hi:[0,0,1]
	v_mov_b32_e32 v20, v6
	v_mov_b32_e32 v21, v29
	v_pk_mul_f32 v[8:9], v[8:9], v[52:53] op_sel_hi:[1,0]
	v_mad_u64_u32 v[2:3], s[0:1], s13, v3, v[2:3]
	v_pk_fma_f32 v[6:7], v[6:7], v[50:51], v[8:9] neg_lo:[0,0,1] neg_hi:[0,0,1]
	v_pk_fma_f32 v[8:9], v[20:21], v[50:51], v[8:9] op_sel_hi:[1,0,1]
	v_mov_b32_e32 v1, v2
	v_lshl_add_u64 v[0:1], v[0:1], 3, v[32:33]
	v_mov_b32_e32 v7, v9
	global_store_dwordx2 v[0:1], v[6:7], off
	s_endpgm
	.section	.rodata,"a",@progbits
	.p2align	6, 0x0
	.amdhsa_kernel fft_rtc_fwd_len84_factors_6_2_7_wgs_252_tpt_7_halfLds_dim2_sp_ip_CI_sbcc_twdbase8_2step_dirReg
		.amdhsa_group_segment_fixed_size 0
		.amdhsa_private_segment_fixed_size 0
		.amdhsa_kernarg_size 88
		.amdhsa_user_sgpr_count 2
		.amdhsa_user_sgpr_dispatch_ptr 0
		.amdhsa_user_sgpr_queue_ptr 0
		.amdhsa_user_sgpr_kernarg_segment_ptr 1
		.amdhsa_user_sgpr_dispatch_id 0
		.amdhsa_user_sgpr_kernarg_preload_length 0
		.amdhsa_user_sgpr_kernarg_preload_offset 0
		.amdhsa_user_sgpr_private_segment_size 0
		.amdhsa_uses_dynamic_stack 0
		.amdhsa_enable_private_segment 0
		.amdhsa_system_sgpr_workgroup_id_x 1
		.amdhsa_system_sgpr_workgroup_id_y 0
		.amdhsa_system_sgpr_workgroup_id_z 0
		.amdhsa_system_sgpr_workgroup_info 0
		.amdhsa_system_vgpr_workitem_id 0
		.amdhsa_next_free_vgpr 109
		.amdhsa_next_free_sgpr 26
		.amdhsa_accum_offset 112
		.amdhsa_reserve_vcc 1
		.amdhsa_float_round_mode_32 0
		.amdhsa_float_round_mode_16_64 0
		.amdhsa_float_denorm_mode_32 3
		.amdhsa_float_denorm_mode_16_64 3
		.amdhsa_dx10_clamp 1
		.amdhsa_ieee_mode 1
		.amdhsa_fp16_overflow 0
		.amdhsa_tg_split 0
		.amdhsa_exception_fp_ieee_invalid_op 0
		.amdhsa_exception_fp_denorm_src 0
		.amdhsa_exception_fp_ieee_div_zero 0
		.amdhsa_exception_fp_ieee_overflow 0
		.amdhsa_exception_fp_ieee_underflow 0
		.amdhsa_exception_fp_ieee_inexact 0
		.amdhsa_exception_int_div_zero 0
	.end_amdhsa_kernel
	.text
.Lfunc_end0:
	.size	fft_rtc_fwd_len84_factors_6_2_7_wgs_252_tpt_7_halfLds_dim2_sp_ip_CI_sbcc_twdbase8_2step_dirReg, .Lfunc_end0-fft_rtc_fwd_len84_factors_6_2_7_wgs_252_tpt_7_halfLds_dim2_sp_ip_CI_sbcc_twdbase8_2step_dirReg
                                        ; -- End function
	.section	.AMDGPU.csdata,"",@progbits
; Kernel info:
; codeLenInByte = 8008
; NumSgprs: 32
; NumVgprs: 109
; NumAgprs: 0
; TotalNumVgprs: 109
; ScratchSize: 0
; MemoryBound: 0
; FloatMode: 240
; IeeeMode: 1
; LDSByteSize: 0 bytes/workgroup (compile time only)
; SGPRBlocks: 3
; VGPRBlocks: 13
; NumSGPRsForWavesPerEU: 32
; NumVGPRsForWavesPerEU: 109
; AccumOffset: 112
; Occupancy: 4
; WaveLimiterHint : 1
; COMPUTE_PGM_RSRC2:SCRATCH_EN: 0
; COMPUTE_PGM_RSRC2:USER_SGPR: 2
; COMPUTE_PGM_RSRC2:TRAP_HANDLER: 0
; COMPUTE_PGM_RSRC2:TGID_X_EN: 1
; COMPUTE_PGM_RSRC2:TGID_Y_EN: 0
; COMPUTE_PGM_RSRC2:TGID_Z_EN: 0
; COMPUTE_PGM_RSRC2:TIDIG_COMP_CNT: 0
; COMPUTE_PGM_RSRC3_GFX90A:ACCUM_OFFSET: 27
; COMPUTE_PGM_RSRC3_GFX90A:TG_SPLIT: 0
	.text
	.p2alignl 6, 3212836864
	.fill 256, 4, 3212836864
	.type	__hip_cuid_191f50650663b33e,@object ; @__hip_cuid_191f50650663b33e
	.section	.bss,"aw",@nobits
	.globl	__hip_cuid_191f50650663b33e
__hip_cuid_191f50650663b33e:
	.byte	0                               ; 0x0
	.size	__hip_cuid_191f50650663b33e, 1

	.ident	"AMD clang version 19.0.0git (https://github.com/RadeonOpenCompute/llvm-project roc-6.4.0 25133 c7fe45cf4b819c5991fe208aaa96edf142730f1d)"
	.section	".note.GNU-stack","",@progbits
	.addrsig
	.addrsig_sym __hip_cuid_191f50650663b33e
	.amdgpu_metadata
---
amdhsa.kernels:
  - .agpr_count:     0
    .args:
      - .actual_access:  read_only
        .address_space:  global
        .offset:         0
        .size:           8
        .value_kind:     global_buffer
      - .address_space:  global
        .offset:         8
        .size:           8
        .value_kind:     global_buffer
      - .actual_access:  read_only
        .address_space:  global
        .offset:         16
        .size:           8
        .value_kind:     global_buffer
      - .actual_access:  read_only
        .address_space:  global
        .offset:         24
        .size:           8
        .value_kind:     global_buffer
      - .offset:         32
        .size:           8
        .value_kind:     by_value
      - .actual_access:  read_only
        .address_space:  global
        .offset:         40
        .size:           8
        .value_kind:     global_buffer
      - .actual_access:  read_only
        .address_space:  global
        .offset:         48
        .size:           8
        .value_kind:     global_buffer
      - .offset:         56
        .size:           4
        .value_kind:     by_value
      - .actual_access:  read_only
        .address_space:  global
        .offset:         64
        .size:           8
        .value_kind:     global_buffer
      - .actual_access:  read_only
        .address_space:  global
        .offset:         72
        .size:           8
        .value_kind:     global_buffer
      - .address_space:  global
        .offset:         80
        .size:           8
        .value_kind:     global_buffer
    .group_segment_fixed_size: 0
    .kernarg_segment_align: 8
    .kernarg_segment_size: 88
    .language:       OpenCL C
    .language_version:
      - 2
      - 0
    .max_flat_workgroup_size: 252
    .name:           fft_rtc_fwd_len84_factors_6_2_7_wgs_252_tpt_7_halfLds_dim2_sp_ip_CI_sbcc_twdbase8_2step_dirReg
    .private_segment_fixed_size: 0
    .sgpr_count:     32
    .sgpr_spill_count: 0
    .symbol:         fft_rtc_fwd_len84_factors_6_2_7_wgs_252_tpt_7_halfLds_dim2_sp_ip_CI_sbcc_twdbase8_2step_dirReg.kd
    .uniform_work_group_size: 1
    .uses_dynamic_stack: false
    .vgpr_count:     109
    .vgpr_spill_count: 0
    .wavefront_size: 64
amdhsa.target:   amdgcn-amd-amdhsa--gfx950
amdhsa.version:
  - 1
  - 2
...

	.end_amdgpu_metadata
